;; amdgpu-corpus repo=ROCm/rocFFT kind=compiled arch=gfx1100 opt=O3
	.text
	.amdgcn_target "amdgcn-amd-amdhsa--gfx1100"
	.amdhsa_code_object_version 6
	.protected	fft_rtc_fwd_len77_factors_7_11_wgs_253_tpt_11_halfLds_dp_op_CI_CI_sbrr_dirReg ; -- Begin function fft_rtc_fwd_len77_factors_7_11_wgs_253_tpt_11_halfLds_dp_op_CI_CI_sbrr_dirReg
	.globl	fft_rtc_fwd_len77_factors_7_11_wgs_253_tpt_11_halfLds_dp_op_CI_CI_sbrr_dirReg
	.p2align	8
	.type	fft_rtc_fwd_len77_factors_7_11_wgs_253_tpt_11_halfLds_dp_op_CI_CI_sbrr_dirReg,@function
fft_rtc_fwd_len77_factors_7_11_wgs_253_tpt_11_halfLds_dp_op_CI_CI_sbrr_dirReg: ; @fft_rtc_fwd_len77_factors_7_11_wgs_253_tpt_11_halfLds_dp_op_CI_CI_sbrr_dirReg
; %bb.0:
	s_clause 0x1
	s_load_b128 s[16:19], s[0:1], 0x18
	s_load_b128 s[8:11], s[0:1], 0x0
	v_mul_u32_u24_e32 v1, 0x1746, v0
	v_mov_b32_e32 v5, 0
	s_load_b128 s[4:7], s[0:1], 0x58
	s_waitcnt lgkmcnt(0)
	s_load_b64 s[20:21], s[16:17], 0x0
	s_load_b64 s[12:13], s[18:19], 0x0
	v_lshrrev_b32_e32 v3, 16, v1
	v_cmp_lt_u64_e64 s2, s[10:11], 2
	s_delay_alu instid0(VALU_DEP_2) | instskip(SKIP_4) | instid1(VALU_DEP_2)
	v_mad_u64_u32 v[1:2], null, s15, 23, v[3:4]
	v_mov_b32_e32 v3, 0
	v_mov_b32_e32 v4, 0
	;; [unrolled: 1-line block ×3, first 2 shown]
	s_and_b32 vcc_lo, exec_lo, s2
	v_dual_mov_b32 v67, v4 :: v_dual_mov_b32 v66, v3
	s_delay_alu instid0(VALU_DEP_2)
	v_dual_mov_b32 v69, v2 :: v_dual_mov_b32 v68, v1
	s_cbranch_vccnz .LBB0_8
; %bb.1:
	s_load_b64 s[2:3], s[0:1], 0x10
	v_dual_mov_b32 v3, 0 :: v_dual_mov_b32 v8, v2
	v_dual_mov_b32 v4, 0 :: v_dual_mov_b32 v7, v1
	s_add_u32 s14, s18, 8
	s_addc_u32 s15, s19, 0
	s_add_u32 s22, s16, 8
	s_delay_alu instid0(VALU_DEP_1)
	v_dual_mov_b32 v67, v4 :: v_dual_mov_b32 v66, v3
	s_addc_u32 s23, s17, 0
	s_mov_b64 s[26:27], 1
	s_waitcnt lgkmcnt(0)
	s_add_u32 s24, s2, 8
	s_addc_u32 s25, s3, 0
.LBB0_2:                                ; =>This Inner Loop Header: Depth=1
	s_load_b64 s[28:29], s[24:25], 0x0
                                        ; implicit-def: $vgpr68_vgpr69
	s_mov_b32 s2, exec_lo
	s_waitcnt lgkmcnt(0)
	v_or_b32_e32 v6, s29, v8
	s_delay_alu instid0(VALU_DEP_1)
	v_cmpx_ne_u64_e32 0, v[5:6]
	s_xor_b32 s3, exec_lo, s2
	s_cbranch_execz .LBB0_4
; %bb.3:                                ;   in Loop: Header=BB0_2 Depth=1
	v_cvt_f32_u32_e32 v2, s28
	v_cvt_f32_u32_e32 v6, s29
	s_sub_u32 s2, 0, s28
	s_subb_u32 s30, 0, s29
	s_delay_alu instid0(VALU_DEP_1) | instskip(NEXT) | instid1(VALU_DEP_1)
	v_fmac_f32_e32 v2, 0x4f800000, v6
	v_rcp_f32_e32 v2, v2
	s_waitcnt_depctr 0xfff
	v_mul_f32_e32 v2, 0x5f7ffffc, v2
	s_delay_alu instid0(VALU_DEP_1) | instskip(NEXT) | instid1(VALU_DEP_1)
	v_mul_f32_e32 v6, 0x2f800000, v2
	v_trunc_f32_e32 v6, v6
	s_delay_alu instid0(VALU_DEP_1) | instskip(SKIP_1) | instid1(VALU_DEP_2)
	v_fmac_f32_e32 v2, 0xcf800000, v6
	v_cvt_u32_f32_e32 v6, v6
	v_cvt_u32_f32_e32 v2, v2
	s_delay_alu instid0(VALU_DEP_2) | instskip(NEXT) | instid1(VALU_DEP_2)
	v_mul_lo_u32 v9, s2, v6
	v_mul_hi_u32 v10, s2, v2
	v_mul_lo_u32 v11, s30, v2
	s_delay_alu instid0(VALU_DEP_2) | instskip(SKIP_1) | instid1(VALU_DEP_2)
	v_add_nc_u32_e32 v9, v10, v9
	v_mul_lo_u32 v10, s2, v2
	v_add_nc_u32_e32 v9, v9, v11
	s_delay_alu instid0(VALU_DEP_2) | instskip(NEXT) | instid1(VALU_DEP_2)
	v_mul_hi_u32 v11, v2, v10
	v_mul_lo_u32 v12, v2, v9
	v_mul_hi_u32 v13, v2, v9
	v_mul_hi_u32 v14, v6, v10
	v_mul_lo_u32 v10, v6, v10
	v_mul_hi_u32 v15, v6, v9
	v_mul_lo_u32 v9, v6, v9
	v_add_co_u32 v11, vcc_lo, v11, v12
	v_add_co_ci_u32_e32 v12, vcc_lo, 0, v13, vcc_lo
	s_delay_alu instid0(VALU_DEP_2) | instskip(NEXT) | instid1(VALU_DEP_2)
	v_add_co_u32 v10, vcc_lo, v11, v10
	v_add_co_ci_u32_e32 v10, vcc_lo, v12, v14, vcc_lo
	v_add_co_ci_u32_e32 v11, vcc_lo, 0, v15, vcc_lo
	s_delay_alu instid0(VALU_DEP_2) | instskip(NEXT) | instid1(VALU_DEP_2)
	v_add_co_u32 v9, vcc_lo, v10, v9
	v_add_co_ci_u32_e32 v10, vcc_lo, 0, v11, vcc_lo
	s_delay_alu instid0(VALU_DEP_2) | instskip(NEXT) | instid1(VALU_DEP_2)
	v_add_co_u32 v2, vcc_lo, v2, v9
	v_add_co_ci_u32_e32 v6, vcc_lo, v6, v10, vcc_lo
	s_delay_alu instid0(VALU_DEP_2) | instskip(SKIP_1) | instid1(VALU_DEP_3)
	v_mul_hi_u32 v9, s2, v2
	v_mul_lo_u32 v11, s30, v2
	v_mul_lo_u32 v10, s2, v6
	s_delay_alu instid0(VALU_DEP_1) | instskip(SKIP_1) | instid1(VALU_DEP_2)
	v_add_nc_u32_e32 v9, v9, v10
	v_mul_lo_u32 v10, s2, v2
	v_add_nc_u32_e32 v9, v9, v11
	s_delay_alu instid0(VALU_DEP_2) | instskip(NEXT) | instid1(VALU_DEP_2)
	v_mul_hi_u32 v11, v2, v10
	v_mul_lo_u32 v12, v2, v9
	v_mul_hi_u32 v13, v2, v9
	v_mul_hi_u32 v14, v6, v10
	v_mul_lo_u32 v10, v6, v10
	v_mul_hi_u32 v15, v6, v9
	v_mul_lo_u32 v9, v6, v9
	v_add_co_u32 v11, vcc_lo, v11, v12
	v_add_co_ci_u32_e32 v12, vcc_lo, 0, v13, vcc_lo
	s_delay_alu instid0(VALU_DEP_2) | instskip(NEXT) | instid1(VALU_DEP_2)
	v_add_co_u32 v10, vcc_lo, v11, v10
	v_add_co_ci_u32_e32 v10, vcc_lo, v12, v14, vcc_lo
	v_add_co_ci_u32_e32 v11, vcc_lo, 0, v15, vcc_lo
	s_delay_alu instid0(VALU_DEP_2) | instskip(NEXT) | instid1(VALU_DEP_2)
	v_add_co_u32 v9, vcc_lo, v10, v9
	v_add_co_ci_u32_e32 v10, vcc_lo, 0, v11, vcc_lo
	s_delay_alu instid0(VALU_DEP_2) | instskip(NEXT) | instid1(VALU_DEP_2)
	v_add_co_u32 v2, vcc_lo, v2, v9
	v_add_co_ci_u32_e32 v6, vcc_lo, v6, v10, vcc_lo
	s_delay_alu instid0(VALU_DEP_2) | instskip(SKIP_1) | instid1(VALU_DEP_3)
	v_mul_hi_u32 v15, v7, v2
	v_mad_u64_u32 v[11:12], null, v8, v2, 0
	v_mad_u64_u32 v[9:10], null, v7, v6, 0
	;; [unrolled: 1-line block ×3, first 2 shown]
	s_delay_alu instid0(VALU_DEP_2) | instskip(NEXT) | instid1(VALU_DEP_3)
	v_add_co_u32 v2, vcc_lo, v15, v9
	v_add_co_ci_u32_e32 v6, vcc_lo, 0, v10, vcc_lo
	s_delay_alu instid0(VALU_DEP_2) | instskip(NEXT) | instid1(VALU_DEP_2)
	v_add_co_u32 v2, vcc_lo, v2, v11
	v_add_co_ci_u32_e32 v2, vcc_lo, v6, v12, vcc_lo
	v_add_co_ci_u32_e32 v6, vcc_lo, 0, v14, vcc_lo
	s_delay_alu instid0(VALU_DEP_2) | instskip(NEXT) | instid1(VALU_DEP_2)
	v_add_co_u32 v2, vcc_lo, v2, v13
	v_add_co_ci_u32_e32 v6, vcc_lo, 0, v6, vcc_lo
	s_delay_alu instid0(VALU_DEP_2) | instskip(SKIP_1) | instid1(VALU_DEP_3)
	v_mul_lo_u32 v11, s29, v2
	v_mad_u64_u32 v[9:10], null, s28, v2, 0
	v_mul_lo_u32 v12, s28, v6
	s_delay_alu instid0(VALU_DEP_2) | instskip(NEXT) | instid1(VALU_DEP_2)
	v_sub_co_u32 v9, vcc_lo, v7, v9
	v_add3_u32 v10, v10, v12, v11
	s_delay_alu instid0(VALU_DEP_1) | instskip(NEXT) | instid1(VALU_DEP_1)
	v_sub_nc_u32_e32 v11, v8, v10
	v_subrev_co_ci_u32_e64 v11, s2, s29, v11, vcc_lo
	v_add_co_u32 v12, s2, v2, 2
	s_delay_alu instid0(VALU_DEP_1) | instskip(SKIP_3) | instid1(VALU_DEP_3)
	v_add_co_ci_u32_e64 v13, s2, 0, v6, s2
	v_sub_co_u32 v14, s2, v9, s28
	v_sub_co_ci_u32_e32 v10, vcc_lo, v8, v10, vcc_lo
	v_subrev_co_ci_u32_e64 v11, s2, 0, v11, s2
	v_cmp_le_u32_e32 vcc_lo, s28, v14
	s_delay_alu instid0(VALU_DEP_3) | instskip(SKIP_1) | instid1(VALU_DEP_4)
	v_cmp_eq_u32_e64 s2, s29, v10
	v_cndmask_b32_e64 v14, 0, -1, vcc_lo
	v_cmp_le_u32_e32 vcc_lo, s29, v11
	v_cndmask_b32_e64 v15, 0, -1, vcc_lo
	v_cmp_le_u32_e32 vcc_lo, s28, v9
	;; [unrolled: 2-line block ×3, first 2 shown]
	v_cndmask_b32_e64 v16, 0, -1, vcc_lo
	v_cmp_eq_u32_e32 vcc_lo, s29, v11
	s_delay_alu instid0(VALU_DEP_2) | instskip(SKIP_3) | instid1(VALU_DEP_3)
	v_cndmask_b32_e64 v9, v16, v9, s2
	v_cndmask_b32_e32 v11, v15, v14, vcc_lo
	v_add_co_u32 v14, vcc_lo, v2, 1
	v_add_co_ci_u32_e32 v15, vcc_lo, 0, v6, vcc_lo
	v_cmp_ne_u32_e32 vcc_lo, 0, v11
	s_delay_alu instid0(VALU_DEP_2) | instskip(SKIP_1) | instid1(VALU_DEP_2)
	v_dual_cndmask_b32 v10, v15, v13 :: v_dual_cndmask_b32 v11, v14, v12
	v_cmp_ne_u32_e32 vcc_lo, 0, v9
	v_cndmask_b32_e32 v69, v6, v10, vcc_lo
	s_delay_alu instid0(VALU_DEP_3)
	v_cndmask_b32_e32 v68, v2, v11, vcc_lo
.LBB0_4:                                ;   in Loop: Header=BB0_2 Depth=1
	s_and_not1_saveexec_b32 s2, s3
	s_cbranch_execz .LBB0_6
; %bb.5:                                ;   in Loop: Header=BB0_2 Depth=1
	v_cvt_f32_u32_e32 v2, s28
	s_sub_i32 s3, 0, s28
	v_mov_b32_e32 v69, v5
	s_delay_alu instid0(VALU_DEP_2) | instskip(SKIP_2) | instid1(VALU_DEP_1)
	v_rcp_iflag_f32_e32 v2, v2
	s_waitcnt_depctr 0xfff
	v_mul_f32_e32 v2, 0x4f7ffffe, v2
	v_cvt_u32_f32_e32 v2, v2
	s_delay_alu instid0(VALU_DEP_1) | instskip(NEXT) | instid1(VALU_DEP_1)
	v_mul_lo_u32 v6, s3, v2
	v_mul_hi_u32 v6, v2, v6
	s_delay_alu instid0(VALU_DEP_1) | instskip(NEXT) | instid1(VALU_DEP_1)
	v_add_nc_u32_e32 v2, v2, v6
	v_mul_hi_u32 v2, v7, v2
	s_delay_alu instid0(VALU_DEP_1) | instskip(SKIP_1) | instid1(VALU_DEP_2)
	v_mul_lo_u32 v6, v2, s28
	v_add_nc_u32_e32 v9, 1, v2
	v_sub_nc_u32_e32 v6, v7, v6
	s_delay_alu instid0(VALU_DEP_1) | instskip(SKIP_1) | instid1(VALU_DEP_2)
	v_subrev_nc_u32_e32 v10, s28, v6
	v_cmp_le_u32_e32 vcc_lo, s28, v6
	v_cndmask_b32_e32 v6, v6, v10, vcc_lo
	v_cndmask_b32_e32 v2, v2, v9, vcc_lo
	s_delay_alu instid0(VALU_DEP_2) | instskip(NEXT) | instid1(VALU_DEP_2)
	v_cmp_le_u32_e32 vcc_lo, s28, v6
	v_add_nc_u32_e32 v9, 1, v2
	s_delay_alu instid0(VALU_DEP_1)
	v_cndmask_b32_e32 v68, v2, v9, vcc_lo
.LBB0_6:                                ;   in Loop: Header=BB0_2 Depth=1
	s_or_b32 exec_lo, exec_lo, s2
	v_mul_lo_u32 v2, v69, s28
	s_delay_alu instid0(VALU_DEP_2)
	v_mul_lo_u32 v6, v68, s29
	s_load_b64 s[2:3], s[22:23], 0x0
	v_mad_u64_u32 v[9:10], null, v68, s28, 0
	s_load_b64 s[28:29], s[14:15], 0x0
	s_add_u32 s26, s26, 1
	s_addc_u32 s27, s27, 0
	s_add_u32 s14, s14, 8
	s_addc_u32 s15, s15, 0
	s_add_u32 s22, s22, 8
	s_delay_alu instid0(VALU_DEP_1) | instskip(SKIP_3) | instid1(VALU_DEP_2)
	v_add3_u32 v2, v10, v6, v2
	v_sub_co_u32 v10, vcc_lo, v7, v9
	s_addc_u32 s23, s23, 0
	s_add_u32 s24, s24, 8
	v_sub_co_ci_u32_e32 v2, vcc_lo, v8, v2, vcc_lo
	s_addc_u32 s25, s25, 0
	s_waitcnt lgkmcnt(0)
	s_delay_alu instid0(VALU_DEP_1)
	v_mul_lo_u32 v11, s2, v2
	v_mul_lo_u32 v12, s3, v10
	v_mad_u64_u32 v[6:7], null, s2, v10, v[3:4]
	v_mul_lo_u32 v2, s28, v2
	v_mul_lo_u32 v13, s29, v10
	v_mad_u64_u32 v[8:9], null, s28, v10, v[66:67]
	v_cmp_ge_u64_e64 s2, s[26:27], s[10:11]
	v_add3_u32 v4, v12, v7, v11
	s_delay_alu instid0(VALU_DEP_3) | instskip(NEXT) | instid1(VALU_DEP_4)
	v_dual_mov_b32 v3, v6 :: v_dual_mov_b32 v66, v8
	v_add3_u32 v67, v13, v9, v2
	s_delay_alu instid0(VALU_DEP_4)
	s_and_b32 vcc_lo, exec_lo, s2
	s_cbranch_vccnz .LBB0_8
; %bb.7:                                ;   in Loop: Header=BB0_2 Depth=1
	v_dual_mov_b32 v7, v68 :: v_dual_mov_b32 v8, v69
	s_branch .LBB0_2
.LBB0_8:
	s_load_b64 s[0:1], s[0:1], 0x28
	v_mul_hi_u32 v2, 0x1745d175, v0
	s_lshl_b64 s[10:11], s[10:11], 3
                                        ; implicit-def: $vgpr94
	s_delay_alu instid0(SALU_CYCLE_1) | instskip(SKIP_4) | instid1(VALU_DEP_1)
	s_add_u32 s2, s18, s10
	s_addc_u32 s3, s19, s11
	s_waitcnt lgkmcnt(0)
	v_cmp_gt_u64_e32 vcc_lo, s[0:1], v[68:69]
	v_cmp_le_u64_e64 s0, s[0:1], v[68:69]
	s_and_saveexec_b32 s1, s0
	s_delay_alu instid0(SALU_CYCLE_1)
	s_xor_b32 s0, exec_lo, s1
; %bb.9:
	v_mul_u32_u24_e32 v2, 11, v2
                                        ; implicit-def: $vgpr3_vgpr4
	s_delay_alu instid0(VALU_DEP_1)
	v_sub_nc_u32_e32 v94, v0, v2
                                        ; implicit-def: $vgpr2
                                        ; implicit-def: $vgpr0
; %bb.10:
	s_or_saveexec_b32 s14, s0
                                        ; implicit-def: $vgpr28_vgpr29
                                        ; implicit-def: $vgpr36_vgpr37
                                        ; implicit-def: $vgpr24_vgpr25
                                        ; implicit-def: $vgpr20_vgpr21
                                        ; implicit-def: $vgpr32_vgpr33
                                        ; implicit-def: $vgpr16_vgpr17
                                        ; implicit-def: $vgpr12_vgpr13
	s_delay_alu instid0(SALU_CYCLE_1)
	s_xor_b32 exec_lo, exec_lo, s14
	s_cbranch_execz .LBB0_12
; %bb.11:
	s_add_u32 s0, s16, s10
	s_addc_u32 s1, s17, s11
	v_mul_u32_u24_e32 v2, 11, v2
	s_load_b64 s[0:1], s[0:1], 0x0
	s_delay_alu instid0(VALU_DEP_1) | instskip(SKIP_1) | instid1(VALU_DEP_2)
	v_sub_nc_u32_e32 v94, v0, v2
	v_lshlrev_b64 v[2:3], 4, v[3:4]
	v_mad_u64_u32 v[5:6], null, s20, v94, 0
	v_add_nc_u32_e32 v13, 11, v94
	v_add_nc_u32_e32 v14, 22, v94
	;; [unrolled: 1-line block ×3, first 2 shown]
	s_delay_alu instid0(VALU_DEP_4) | instskip(NEXT) | instid1(VALU_DEP_4)
	v_dual_mov_b32 v0, v6 :: v_dual_add_nc_u32 v29, 0x42, v94
	v_mad_u64_u32 v[9:10], null, s20, v13, 0
	s_waitcnt lgkmcnt(0)
	v_mul_lo_u32 v4, s1, v68
	v_mul_lo_u32 v6, s0, v69
	v_mad_u64_u32 v[7:8], null, s0, v68, 0
	v_mad_u64_u32 v[18:19], null, s20, v14, 0
	;; [unrolled: 1-line block ×3, first 2 shown]
	v_dual_mov_b32 v0, v10 :: v_dual_add_nc_u32 v15, 33, v94
	s_delay_alu instid0(VALU_DEP_4) | instskip(NEXT) | instid1(VALU_DEP_4)
	v_add3_u32 v8, v8, v6, v4
	v_mov_b32_e32 v4, v19
	s_delay_alu instid0(VALU_DEP_3) | instskip(NEXT) | instid1(VALU_DEP_3)
	v_mad_u64_u32 v[20:21], null, s20, v15, 0
	v_lshlrev_b64 v[7:8], 4, v[7:8]
	v_mov_b32_e32 v6, v11
	v_mad_u64_u32 v[10:11], null, s21, v13, v[0:1]
	v_mad_u64_u32 v[11:12], null, s21, v14, v[4:5]
	s_delay_alu instid0(VALU_DEP_4) | instskip(NEXT) | instid1(VALU_DEP_4)
	v_add_co_u32 v0, s0, s4, v7
	v_lshlrev_b64 v[4:5], 4, v[5:6]
	v_add_co_ci_u32_e64 v6, s0, s5, v8, s0
	s_delay_alu instid0(VALU_DEP_3) | instskip(SKIP_1) | instid1(VALU_DEP_3)
	v_add_co_u32 v26, s0, v0, v2
	v_mov_b32_e32 v0, v21
	v_add_co_ci_u32_e64 v27, s0, v6, v3, s0
	v_lshlrev_b64 v[2:3], 4, v[9:10]
	v_mad_u64_u32 v[7:8], null, s20, v28, 0
	s_delay_alu instid0(VALU_DEP_4) | instskip(SKIP_2) | instid1(VALU_DEP_1)
	v_mad_u64_u32 v[9:10], null, s21, v15, v[0:1]
	v_add_nc_u32_e32 v16, 44, v94
	v_add_co_u32 v4, s0, v26, v4
	v_add_co_ci_u32_e64 v5, s0, v27, v5, s0
	v_add_co_u32 v2, s0, v26, v2
	v_mov_b32_e32 v21, v9
	v_mad_u64_u32 v[22:23], null, s20, v16, 0
	v_mov_b32_e32 v0, v8
	v_add_co_ci_u32_e64 v3, s0, v27, v3, s0
	v_mov_b32_e32 v19, v11
	s_delay_alu instid0(VALU_DEP_4) | instskip(NEXT) | instid1(VALU_DEP_1)
	v_mov_b32_e32 v6, v23
	v_mad_u64_u32 v[23:24], null, s21, v16, v[6:7]
	v_mad_u64_u32 v[24:25], null, s20, v29, 0
	s_clause 0x1
	global_load_b128 v[10:13], v[4:5], off
	global_load_b128 v[14:17], v[2:3], off
	v_mad_u64_u32 v[4:5], null, s21, v28, v[0:1]
	v_lshlrev_b64 v[2:3], 4, v[18:19]
	v_lshlrev_b64 v[5:6], 4, v[20:21]
	v_mov_b32_e32 v0, v25
	s_delay_alu instid0(VALU_DEP_3) | instskip(NEXT) | instid1(VALU_DEP_2)
	v_add_co_u32 v2, s0, v26, v2
	v_mad_u64_u32 v[18:19], null, s21, v29, v[0:1]
	v_mov_b32_e32 v8, v4
	v_add_co_ci_u32_e64 v3, s0, v27, v3, s0
	v_lshlrev_b64 v[19:20], 4, v[22:23]
	v_add_co_u32 v4, s0, v26, v5
	v_mov_b32_e32 v25, v18
	v_add_co_ci_u32_e64 v5, s0, v27, v6, s0
	v_lshlrev_b64 v[6:7], 4, v[7:8]
	v_add_co_u32 v8, s0, v26, v19
	s_delay_alu instid0(VALU_DEP_4) | instskip(SKIP_1) | instid1(VALU_DEP_4)
	v_lshlrev_b64 v[18:19], 4, v[24:25]
	v_add_co_ci_u32_e64 v9, s0, v27, v20, s0
	v_add_co_u32 v6, s0, v26, v6
	s_delay_alu instid0(VALU_DEP_1) | instskip(NEXT) | instid1(VALU_DEP_4)
	v_add_co_ci_u32_e64 v7, s0, v27, v7, s0
	v_add_co_u32 v26, s0, v26, v18
	s_delay_alu instid0(VALU_DEP_1)
	v_add_co_ci_u32_e64 v27, s0, v27, v19, s0
	s_clause 0x4
	global_load_b128 v[30:33], v[2:3], off
	global_load_b128 v[18:21], v[4:5], off
	;; [unrolled: 1-line block ×5, first 2 shown]
.LBB0_12:
	s_or_b32 exec_lo, exec_lo, s14
	s_waitcnt vmcnt(0)
	v_add_f64 v[2:3], v[26:27], v[14:15]
	v_add_f64 v[4:5], v[34:35], v[30:31]
	v_add_f64 v[6:7], v[32:33], -v[36:37]
	v_add_f64 v[8:9], v[22:23], v[18:19]
	v_add_f64 v[38:39], v[24:25], -v[20:21]
	v_add_f64 v[40:41], v[16:17], -v[28:29]
	s_mov_b32 s4, 0x37e14327
	s_mov_b32 s14, 0xe976ee23
	;; [unrolled: 1-line block ×20, first 2 shown]
	v_mul_hi_u32 v0, 0xb21642c9, v1
	s_load_b64 s[36:37], s[2:3], 0x0
	v_cmp_gt_u32_e64 s0, 7, v94
	s_delay_alu instid0(VALU_DEP_2) | instskip(NEXT) | instid1(VALU_DEP_1)
	v_lshrrev_b32_e32 v0, 4, v0
	v_mul_lo_u32 v0, v0, 23
	v_add_f64 v[42:43], v[4:5], v[2:3]
	v_add_f64 v[44:45], v[2:3], -v[8:9]
	v_add_f64 v[46:47], v[38:39], -v[6:7]
	;; [unrolled: 1-line block ×3, first 2 shown]
	v_add_f64 v[6:7], v[38:39], v[6:7]
	v_add_f64 v[38:39], v[40:41], -v[38:39]
	v_add_f64 v[2:3], v[4:5], -v[2:3]
	v_sub_nc_u32_e32 v1, v1, v0
	v_mad_u32_u24 v0, v94, 56, 0
	s_delay_alu instid0(VALU_DEP_2)
	v_mul_u32_u24_e32 v1, 0x4d, v1
	v_add_f64 v[42:43], v[8:9], v[42:43]
	v_add_f64 v[8:9], v[8:9], -v[4:5]
	v_mul_f64 v[44:45], v[44:45], s[4:5]
	v_mul_f64 v[46:47], v[46:47], s[14:15]
	;; [unrolled: 1-line block ×3, first 2 shown]
	v_add_f64 v[6:7], v[6:7], v[40:41]
	v_add_f64 v[64:65], v[10:11], v[42:43]
	v_mul_f64 v[4:5], v[8:9], s[16:17]
	v_fma_f64 v[8:9], v[8:9], s[16:17], v[44:45]
	v_fma_f64 v[10:11], v[38:39], s[24:25], v[46:47]
	v_fma_f64 v[40:41], v[48:49], s[10:11], -v[46:47]
	v_fma_f64 v[38:39], v[38:39], s[26:27], -v[50:51]
	;; [unrolled: 1-line block ×3, first 2 shown]
	v_fma_f64 v[42:43], v[42:43], s[18:19], v[64:65]
	v_fma_f64 v[2:3], v[2:3], s[20:21], -v[4:5]
	v_fma_f64 v[4:5], v[6:7], s[28:29], v[10:11]
	v_fma_f64 v[10:11], v[6:7], s[28:29], v[40:41]
	;; [unrolled: 1-line block ×3, first 2 shown]
	v_lshl_add_u32 v40, v1, 3, v0
	v_add_f64 v[8:9], v[8:9], v[42:43]
	v_add_f64 v[38:39], v[44:45], v[42:43]
	;; [unrolled: 1-line block ×3, first 2 shown]
	s_delay_alu instid0(VALU_DEP_3) | instskip(NEXT) | instid1(VALU_DEP_3)
	v_add_f64 v[78:79], v[4:5], v[8:9]
	v_add_f64 v[76:77], v[6:7], v[38:39]
	s_delay_alu instid0(VALU_DEP_3)
	v_add_f64 v[74:75], v[2:3], -v[10:11]
	v_add_f64 v[72:73], v[10:11], v[2:3]
	v_add_f64 v[70:71], v[38:39], -v[6:7]
	v_add_f64 v[2:3], v[8:9], -v[4:5]
	v_lshlrev_b32_e32 v38, 3, v94
	v_lshlrev_b32_e32 v39, 3, v1
                                        ; implicit-def: $vgpr10_vgpr11
                                        ; implicit-def: $vgpr6_vgpr7
	ds_store_2addr_b64 v40, v[64:65], v[78:79] offset1:1
	ds_store_2addr_b64 v40, v[76:77], v[74:75] offset0:2 offset1:3
	ds_store_2addr_b64 v40, v[72:73], v[70:71] offset0:4 offset1:5
	ds_store_b64 v40, v[2:3] offset:48
	s_waitcnt lgkmcnt(0)
	s_barrier
	buffer_gl0_inv
	s_and_saveexec_b32 s1, s0
	s_cbranch_execz .LBB0_14
; %bb.13:
	v_mul_i32_i24_e32 v1, 0xffffffd0, v94
	v_add3_u32 v4, 0, v39, v38
	s_delay_alu instid0(VALU_DEP_2)
	v_add3_u32 v8, v0, v1, v39
	ds_load_2addr_b64 v[0:3], v8 offset0:35 offset1:42
	ds_load_2addr_b64 v[41:44], v8 offset0:21 offset1:28
	;; [unrolled: 1-line block ×3, first 2 shown]
	ds_load_b64 v[64:65], v4
	ds_load_2addr_b64 v[4:7], v8 offset0:49 offset1:56
	ds_load_2addr_b64 v[8:11], v8 offset0:63 offset1:70
	s_waitcnt lgkmcnt(3)
	v_dual_mov_b32 v77, v48 :: v_dual_mov_b32 v76, v47
	v_dual_mov_b32 v71, v1 :: v_dual_mov_b32 v70, v0
	;; [unrolled: 1-line block ×5, first 2 shown]
.LBB0_14:
	s_or_b32 exec_lo, exec_lo, s1
	v_add_f64 v[16:17], v[28:29], v[16:17]
	v_add_f64 v[28:29], v[36:37], v[32:33]
	v_add_f64 v[0:1], v[30:31], -v[34:35]
	v_add_f64 v[20:21], v[24:25], v[20:21]
	v_add_f64 v[18:19], v[22:23], -v[18:19]
	v_add_f64 v[14:15], v[14:15], -v[26:27]
	s_waitcnt lgkmcnt(0)
	s_barrier
	buffer_gl0_inv
	v_add_f64 v[22:23], v[28:29], v[16:17]
	v_add_f64 v[24:25], v[16:17], -v[20:21]
	v_add_f64 v[26:27], v[18:19], -v[0:1]
	;; [unrolled: 1-line block ×3, first 2 shown]
	v_add_f64 v[32:33], v[18:19], v[0:1]
	v_add_f64 v[18:19], v[14:15], -v[18:19]
	v_add_f64 v[22:23], v[20:21], v[22:23]
	v_add_f64 v[20:21], v[20:21], -v[28:29]
	v_mul_f64 v[24:25], v[24:25], s[4:5]
	v_mul_f64 v[26:27], v[26:27], s[14:15]
	;; [unrolled: 1-line block ×3, first 2 shown]
	v_add_f64 v[14:15], v[32:33], v[14:15]
	v_add_f64 v[0:1], v[12:13], v[22:23]
	v_add_f64 v[12:13], v[28:29], -v[16:17]
	v_mul_f64 v[16:17], v[20:21], s[16:17]
	v_fma_f64 v[20:21], v[20:21], s[16:17], v[24:25]
	v_fma_f64 v[28:29], v[18:19], s[24:25], v[26:27]
	v_fma_f64 v[26:27], v[30:31], s[10:11], -v[26:27]
	v_fma_f64 v[18:19], v[18:19], s[26:27], -v[34:35]
	v_fma_f64 v[22:23], v[22:23], s[18:19], v[0:1]
	v_fma_f64 v[24:25], v[12:13], s[22:23], -v[24:25]
	v_fma_f64 v[12:13], v[12:13], s[20:21], -v[16:17]
	v_fma_f64 v[16:17], v[14:15], s[28:29], v[28:29]
	v_fma_f64 v[26:27], v[14:15], s[28:29], v[26:27]
	v_fma_f64 v[14:15], v[14:15], s[28:29], v[18:19]
	v_add_f64 v[18:19], v[20:21], v[22:23]
	v_add_f64 v[20:21], v[24:25], v[22:23]
	;; [unrolled: 1-line block ×3, first 2 shown]
                                        ; implicit-def: $vgpr22_vgpr23
	s_delay_alu instid0(VALU_DEP_3) | instskip(NEXT) | instid1(VALU_DEP_3)
	v_add_f64 v[86:87], v[18:19], -v[16:17]
	v_add_f64 v[84:85], v[20:21], -v[14:15]
	s_delay_alu instid0(VALU_DEP_3)
	v_add_f64 v[82:83], v[26:27], v[12:13]
	v_add_f64 v[12:13], v[12:13], -v[26:27]
	v_add_f64 v[80:81], v[14:15], v[20:21]
	v_add_f64 v[14:15], v[16:17], v[18:19]
                                        ; implicit-def: $vgpr18_vgpr19
	ds_store_2addr_b64 v40, v[0:1], v[86:87] offset1:1
	ds_store_2addr_b64 v40, v[84:85], v[82:83] offset0:2 offset1:3
	ds_store_2addr_b64 v40, v[12:13], v[80:81] offset0:4 offset1:5
	ds_store_b64 v40, v[14:15] offset:48
	s_waitcnt lgkmcnt(0)
	s_barrier
	buffer_gl0_inv
	s_and_saveexec_b32 s1, s0
	s_cbranch_execz .LBB0_16
; %bb.15:
	v_add3_u32 v20, 0, v38, v39
	v_add3_u32 v0, 0, v39, v38
	ds_load_2addr_b64 v[12:15], v20 offset0:35 offset1:42
	ds_load_2addr_b64 v[24:27], v20 offset0:21 offset1:28
	;; [unrolled: 1-line block ×3, first 2 shown]
	ds_load_b64 v[0:1], v0
	ds_load_2addr_b64 v[16:19], v20 offset0:49 offset1:56
	ds_load_2addr_b64 v[20:23], v20 offset0:63 offset1:70
	s_waitcnt lgkmcnt(3)
	v_dual_mov_b32 v85, v31 :: v_dual_mov_b32 v84, v30
	v_dual_mov_b32 v81, v13 :: v_dual_mov_b32 v80, v12
	;; [unrolled: 1-line block ×5, first 2 shown]
.LBB0_16:
	s_or_b32 exec_lo, exec_lo, s1
	v_cmp_gt_u32_e64 s1, 7, v94
	s_delay_alu instid0(VALU_DEP_1) | instskip(NEXT) | instid1(SALU_CYCLE_1)
	s_and_b32 s1, vcc_lo, s1
	s_and_saveexec_b32 s2, s1
	s_cbranch_execz .LBB0_18
; %bb.17:
	v_dual_mov_b32 v25, 0 :: v_dual_add_nc_u32 v24, -7, v94
	v_mad_u64_u32 v[97:98], null, s12, v94, 0
	v_lshlrev_b64 v[99:100], 4, v[66:67]
	s_delay_alu instid0(VALU_DEP_3) | instskip(SKIP_3) | instid1(VALU_DEP_4)
	v_cndmask_b32_e64 v24, v24, v94, s0
	v_mul_lo_u32 v111, s37, v68
	v_mul_lo_u32 v112, s36, v69
	v_mad_u64_u32 v[95:96], null, s36, v68, 0
	v_mul_i32_i24_e32 v24, 10, v24
	v_mad_u64_u32 v[113:114], null, s13, v94, v[98:99]
	v_add_nc_u32_e32 v128, 7, v94
	v_or_b32_e32 v145, 56, v94
	s_delay_alu instid0(VALU_DEP_4)
	v_lshlrev_b64 v[24:25], 4, v[24:25]
	v_add_nc_u32_e32 v130, 21, v94
	v_add3_u32 v96, v96, v112, v111
	v_mad_u64_u32 v[101:102], null, s12, v128, 0
	v_mad_u64_u32 v[68:69], null, s12, v145, 0
	v_add_co_u32 v56, vcc_lo, s8, v24
	v_add_co_ci_u32_e32 v57, vcc_lo, s9, v25, vcc_lo
	v_add_nc_u32_e32 v129, 14, v94
	v_add_nc_u32_e32 v131, 28, v94
	s_clause 0x9
	global_load_b128 v[40:43], v[56:57], off
	global_load_b128 v[24:27], v[56:57], off offset:80
	global_load_b128 v[28:31], v[56:57], off offset:144
	;; [unrolled: 1-line block ×9, first 2 shown]
	v_add_nc_u32_e32 v132, 35, v94
	v_add_nc_u32_e32 v134, 49, v94
	;; [unrolled: 1-line block ×3, first 2 shown]
	v_mad_u64_u32 v[109:110], null, s12, v130, 0
	v_add_nc_u32_e32 v133, 42, v94
	v_mad_u64_u32 v[90:91], null, s12, v132, 0
	s_delay_alu instid0(VALU_DEP_4)
	v_mad_u64_u32 v[111:112], null, s12, v147, 0
	s_mov_b32 s0, 0x9bcd5057
	s_mov_b32 s2, 0xfd768dbf
	;; [unrolled: 1-line block ×30, first 2 shown]
	s_waitcnt vmcnt(9)
	v_mul_f64 v[103:104], v[86:87], v[40:41]
	v_mul_f64 v[105:106], v[86:87], v[42:43]
	s_waitcnt vmcnt(8)
	v_mul_f64 v[114:115], v[14:15], v[24:25]
	s_waitcnt vmcnt(6)
	v_mul_f64 v[118:119], v[84:85], v[36:37]
	s_waitcnt vmcnt(5) lgkmcnt(0)
	v_mul_f64 v[120:121], v[20:21], v[32:33]
	v_mul_f64 v[84:85], v[84:85], v[38:39]
	s_waitcnt vmcnt(3)
	v_mul_f64 v[124:125], v[18:19], v[44:45]
	v_mul_f64 v[139:140], v[18:19], v[46:47]
	s_waitcnt vmcnt(2)
	v_mul_f64 v[141:142], v[12:13], v[54:55]
	s_waitcnt vmcnt(1)
	v_mul_f64 v[143:144], v[16:17], v[62:63]
	v_mad_u64_u32 v[86:87], null, s12, v134, 0
	v_mul_f64 v[116:117], v[22:23], v[28:29]
	v_mul_f64 v[122:123], v[82:83], v[48:49]
	;; [unrolled: 1-line block ×5, first 2 shown]
	v_fma_f64 v[42:43], v[78:79], v[42:43], v[103:104]
	v_fma_f64 v[40:41], v[78:79], v[40:41], -v[105:106]
	v_mul_f64 v[78:79], v[12:13], v[52:53]
	v_mul_f64 v[103:104], v[16:17], v[60:61]
	s_waitcnt vmcnt(0)
	v_mul_f64 v[105:106], v[80:81], v[56:57]
	v_mul_f64 v[80:81], v[80:81], v[58:59]
	v_fma_f64 v[16:17], v[6:7], v[46:47], v[124:125]
	v_fma_f64 v[20:21], v[2:3], v[26:27], v[114:115]
	;; [unrolled: 1-line block ×4, first 2 shown]
	v_fma_f64 v[34:35], v[76:77], v[36:37], -v[84:85]
	v_fma_f64 v[6:7], v[6:7], v[44:45], -v[139:140]
	v_fma_f64 v[12:13], v[10:11], v[30:31], v[116:117]
	v_fma_f64 v[24:25], v[2:3], v[24:25], -v[135:136]
	v_fma_f64 v[8:9], v[8:9], v[32:33], -v[137:138]
	;; [unrolled: 1-line block ×3, first 2 shown]
	v_add_f64 v[36:37], v[0:1], v[42:43]
	v_add_f64 v[38:39], v[64:65], v[40:41]
	v_fma_f64 v[46:47], v[72:73], v[54:55], v[78:79]
	v_mad_u64_u32 v[54:55], null, s13, v145, v[69:70]
	v_add_nc_u32_e32 v146, 63, v94
	v_lshlrev_b64 v[94:95], 4, v[95:96]
	v_mov_b32_e32 v96, v102
	v_mad_u64_u32 v[107:108], null, s12, v129, 0
	v_mov_b32_e32 v102, v110
	v_mov_b32_e32 v69, v54
	v_mad_u64_u32 v[88:89], null, s12, v133, 0
	v_mad_u64_u32 v[126:127], null, s13, v128, v[96:97]
	v_mov_b32_e32 v98, v108
	v_mad_u64_u32 v[92:93], null, s12, v131, 0
	v_fma_f64 v[44:45], v[70:71], v[56:57], -v[80:81]
	v_add_f64 v[52:53], v[26:27], v[14:15]
	s_delay_alu instid0(VALU_DEP_4)
	v_mad_u64_u32 v[127:128], null, s13, v129, v[98:99]
	v_mad_u64_u32 v[128:129], null, s13, v130, v[102:103]
	;; [unrolled: 1-line block ×6, first 2 shown]
	v_mul_f64 v[133:134], v[22:23], v[30:31]
	v_add_co_u32 v22, vcc_lo, s6, v94
	v_add_co_ci_u32_e32 v55, vcc_lo, s7, v95, vcc_lo
	v_fma_f64 v[30:31], v[74:75], v[50:51], v[122:123]
	s_delay_alu instid0(VALU_DEP_3) | instskip(NEXT) | instid1(VALU_DEP_3)
	v_add_co_u32 v23, vcc_lo, v22, v99
	v_add_co_ci_u32_e32 v22, vcc_lo, v55, v100, vcc_lo
	v_add_f64 v[55:56], v[26:27], -v[14:15]
	v_add_f64 v[26:27], v[26:27], v[36:37]
	v_add_f64 v[36:37], v[34:35], v[38:39]
	v_mad_u64_u32 v[66:67], null, s12, v146, 0
	v_fma_f64 v[50:51], v[70:71], v[58:59], v[105:106]
	v_mov_b32_e32 v108, v112
	v_fma_f64 v[18:19], v[4:5], v[62:63], v[103:104]
	v_dual_mov_b32 v110, v128 :: v_dual_mov_b32 v91, v130
	v_mov_b32_e32 v102, v126
	v_mad_u64_u32 v[58:59], null, s13, v146, v[67:68]
	v_mov_b32_e32 v98, v113
	v_mad_u64_u32 v[62:63], null, s13, v147, v[108:109]
	v_mov_b32_e32 v108, v127
	v_fma_f64 v[4:5], v[4:5], v[60:61], -v[143:144]
	v_lshlrev_b64 v[78:79], 4, v[109:110]
	v_mov_b32_e32 v67, v58
	v_lshlrev_b64 v[2:3], 4, v[97:98]
	v_dual_mov_b32 v93, v129 :: v_dual_mov_b32 v112, v62
	v_lshlrev_b64 v[61:62], 4, v[107:108]
	v_mov_b32_e32 v89, v131
	v_mul_f64 v[124:125], v[52:53], s[28:29]
	s_delay_alu instid0(VALU_DEP_4)
	v_lshlrev_b64 v[80:81], 4, v[92:93]
	v_add_f64 v[92:93], v[34:35], -v[8:9]
	v_fma_f64 v[10:11], v[10:11], v[28:29], -v[133:134]
	v_fma_f64 v[28:29], v[74:75], v[48:49], -v[82:83]
	v_add_f64 v[48:49], v[42:43], v[12:13]
	v_add_f64 v[42:43], v[42:43], -v[12:13]
	v_lshlrev_b64 v[82:83], 4, v[90:91]
	v_add_f64 v[59:60], v[30:31], v[16:17]
	v_lshlrev_b64 v[84:85], 4, v[88:89]
	v_lshlrev_b64 v[88:89], 4, v[111:112]
	v_add_f64 v[34:35], v[34:35], v[8:9]
	v_mul_f64 v[110:111], v[52:53], s[8:9]
	v_mul_f64 v[112:113], v[55:56], s[14:15]
	v_add_f64 v[26:27], v[30:31], v[26:27]
	v_mul_f64 v[128:129], v[55:56], s[30:31]
	v_mul_f64 v[154:155], v[52:53], s[0:1]
	;; [unrolled: 1-line block ×7, first 2 shown]
	v_add_f64 v[38:39], v[30:31], -v[16:17]
	v_lshlrev_b64 v[57:58], 4, v[101:102]
	v_add_f64 v[102:103], v[44:45], -v[24:25]
	v_add_f64 v[104:105], v[44:45], v[24:25]
	v_add_f64 v[74:75], v[50:51], v[20:21]
	v_add_f64 v[76:77], v[50:51], -v[20:21]
	v_add_f64 v[70:71], v[46:47], v[18:19]
	v_add_f64 v[72:73], v[46:47], -v[18:19]
	v_mov_b32_e32 v87, v132
	v_add_f64 v[98:99], v[32:33], -v[4:5]
	v_add_f64 v[100:101], v[32:33], v[4:5]
	v_lshlrev_b64 v[68:69], 4, v[68:69]
	v_lshlrev_b64 v[66:67], 4, v[66:67]
	;; [unrolled: 1-line block ×3, first 2 shown]
	v_add_f64 v[90:91], v[40:41], -v[10:11]
	v_add_f64 v[94:95], v[28:29], -v[6:7]
	v_add_f64 v[96:97], v[28:29], v[6:7]
	v_add_f64 v[28:29], v[28:29], v[36:37]
	;; [unrolled: 1-line block ×3, first 2 shown]
	v_mul_f64 v[106:107], v[48:49], s[0:1]
	v_mul_f64 v[108:109], v[42:43], s[4:5]
	;; [unrolled: 1-line block ×7, first 2 shown]
	v_add_f64 v[26:27], v[46:47], v[26:27]
	v_mul_f64 v[162:163], v[42:43], s[34:35]
	v_mul_f64 v[164:165], v[42:43], s[24:25]
	;; [unrolled: 1-line block ×8, first 2 shown]
	v_fma_f64 v[182:183], v[92:93], s[10:11], v[110:111]
	v_fma_f64 v[184:185], v[34:35], s[8:9], v[112:113]
	;; [unrolled: 1-line block ×3, first 2 shown]
	v_fma_f64 v[112:113], v[34:35], s[8:9], -v[112:113]
	v_fma_f64 v[210:211], v[92:93], s[4:5], v[154:155]
	v_fma_f64 v[154:155], v[92:93], s[2:3], v[154:155]
	;; [unrolled: 1-line block ×7, first 2 shown]
	v_fma_f64 v[168:169], v[34:35], s[16:17], -v[168:169]
	v_fma_f64 v[218:219], v[34:35], s[22:23], v[54:55]
	v_mul_f64 v[30:31], v[38:39], s[20:21]
	v_mul_f64 v[132:133], v[38:39], s[10:11]
	;; [unrolled: 1-line block ×7, first 2 shown]
	v_add_f64 v[28:29], v[32:33], v[28:29]
	v_mul_f64 v[32:33], v[38:39], s[26:27]
	v_fma_f64 v[178:179], v[90:91], s[2:3], v[106:107]
	v_fma_f64 v[180:181], v[40:41], s[0:1], v[108:109]
	;; [unrolled: 1-line block ×7, first 2 shown]
	v_add_f64 v[26:27], v[50:51], v[26:27]
	v_fma_f64 v[106:107], v[90:91], s[4:5], v[106:107]
	v_fma_f64 v[108:109], v[40:41], s[0:1], -v[108:109]
	v_fma_f64 v[122:123], v[90:91], s[20:21], v[122:123]
	v_fma_f64 v[50:51], v[40:41], s[22:23], -v[164:165]
	v_fma_f64 v[208:209], v[40:41], s[28:29], -v[162:163]
	;; [unrolled: 1-line block ×3, first 2 shown]
	v_fma_f64 v[158:159], v[90:91], s[30:31], v[158:159]
	v_fma_f64 v[162:163], v[40:41], s[28:29], v[162:163]
	;; [unrolled: 1-line block ×6, first 2 shown]
	v_fma_f64 v[128:129], v[34:35], s[28:29], -v[128:129]
	v_mul_f64 v[38:39], v[38:39], s[34:35]
	v_mul_f64 v[70:71], v[70:71], s[16:17]
	v_mul_f64 v[116:117], v[72:73], s[26:27]
	v_mul_f64 v[136:137], v[72:73], s[4:5]
	v_mul_f64 v[170:171], v[72:73], s[10:11]
	v_mul_f64 v[172:173], v[72:73], s[30:31]
	v_mul_f64 v[72:73], v[72:73], s[20:21]
	v_fma_f64 v[186:187], v[94:95], s[18:19], v[114:115]
	v_fma_f64 v[188:189], v[96:97], s[16:17], v[30:31]
	;; [unrolled: 1-line block ×3, first 2 shown]
	v_fma_f64 v[30:31], v[96:97], s[16:17], -v[30:31]
	v_fma_f64 v[220:221], v[96:97], s[0:1], v[46:47]
	v_fma_f64 v[46:47], v[96:97], s[0:1], -v[46:47]
	v_mul_f64 v[118:119], v[74:75], s[28:29]
	v_mul_f64 v[120:121], v[76:77], s[34:35]
	v_add_f64 v[28:29], v[44:45], v[28:29]
	v_fma_f64 v[44:45], v[40:41], s[8:9], -v[42:43]
	v_fma_f64 v[40:41], v[40:41], s[8:9], v[42:43]
	v_fma_f64 v[42:43], v[92:93], s[34:35], v[124:125]
	;; [unrolled: 1-line block ×4, first 2 shown]
	v_fma_f64 v[166:167], v[34:35], s[0:1], -v[166:167]
	v_fma_f64 v[34:35], v[34:35], s[22:23], -v[54:55]
	v_add_f64 v[54:55], v[0:1], v[178:179]
	v_add_f64 v[178:179], v[64:65], v[180:181]
	;; [unrolled: 1-line block ×13, first 2 shown]
	v_fma_f64 v[206:207], v[94:95], s[4:5], v[152:153]
	v_fma_f64 v[152:153], v[94:95], s[2:3], v[152:153]
	;; [unrolled: 1-line block ×3, first 2 shown]
	v_fma_f64 v[38:39], v[96:97], s[28:29], -v[38:39]
	v_mul_f64 v[138:139], v[74:75], s[22:23]
	v_mul_f64 v[140:141], v[76:77], s[26:27]
	;; [unrolled: 1-line block ×8, first 2 shown]
	v_fma_f64 v[190:191], v[98:99], s[24:25], v[36:37]
	v_fma_f64 v[192:193], v[100:101], s[22:23], v[116:117]
	;; [unrolled: 1-line block ×3, first 2 shown]
	v_fma_f64 v[116:117], v[100:101], s[22:23], -v[116:117]
	v_fma_f64 v[194:195], v[102:103], s[30:31], v[118:119]
	v_add_f64 v[24:25], v[24:25], v[28:29]
	v_add_f64 v[26:27], v[64:65], v[44:45]
	;; [unrolled: 1-line block ×9, first 2 shown]
	v_fma_f64 v[208:209], v[94:95], s[30:31], v[59:60]
	v_fma_f64 v[59:60], v[94:95], s[34:35], v[59:60]
	;; [unrolled: 1-line block ×5, first 2 shown]
	v_add_f64 v[52:53], v[52:53], v[204:205]
	v_add_f64 v[18:19], v[18:19], v[20:21]
	;; [unrolled: 1-line block ×6, first 2 shown]
	v_fma_f64 v[150:151], v[94:95], s[26:27], v[150:151]
	v_fma_f64 v[94:95], v[96:97], s[22:23], v[32:33]
	v_fma_f64 v[32:33], v[96:97], s[22:23], -v[32:33]
	v_add_f64 v[42:43], v[42:43], v[180:181]
	v_add_f64 v[122:123], v[154:155], v[200:201]
	v_fma_f64 v[63:64], v[96:97], s[8:9], v[132:133]
	v_fma_f64 v[132:133], v[96:97], s[8:9], -v[132:133]
	v_add_f64 v[90:91], v[90:91], v[198:199]
	v_add_f64 v[112:113], v[128:129], v[126:127]
	;; [unrolled: 1-line block ×4, first 2 shown]
	v_fma_f64 v[156:157], v[98:99], s[18:19], v[70:71]
	v_fma_f64 v[70:71], v[98:99], s[20:21], v[70:71]
	v_fma_f64 v[126:127], v[100:101], s[0:1], v[136:137]
	v_fma_f64 v[128:129], v[98:99], s[4:5], v[134:135]
	v_fma_f64 v[154:155], v[98:99], s[34:35], v[148:149]
	v_fma_f64 v[148:149], v[98:99], s[30:31], v[148:149]
	v_fma_f64 v[196:197], v[104:105], s[28:29], v[120:121]
	v_add_f64 v[4:5], v[4:5], v[24:25]
	v_add_f64 v[20:21], v[34:35], v[26:27]
	;; [unrolled: 1-line block ×10, first 2 shown]
	v_fma_f64 v[166:167], v[100:101], s[16:17], v[72:73]
	v_fma_f64 v[72:73], v[100:101], s[16:17], -v[72:73]
	v_fma_f64 v[92:93], v[98:99], s[2:3], v[134:135]
	v_fma_f64 v[134:135], v[100:101], s[0:1], -v[136:137]
	v_add_f64 v[52:53], v[59:60], v[52:53]
	v_add_f64 v[16:17], v[16:17], v[18:19]
	v_fma_f64 v[136:137], v[98:99], s[14:15], v[146:147]
	v_fma_f64 v[146:147], v[98:99], s[10:11], v[146:147]
	v_fma_f64 v[98:99], v[100:101], s[8:9], v[170:171]
	v_fma_f64 v[158:159], v[100:101], s[8:9], -v[170:171]
	v_fma_f64 v[160:161], v[100:101], s[28:29], v[172:173]
	v_fma_f64 v[162:163], v[100:101], s[28:29], -v[172:173]
	v_add_f64 v[100:101], v[114:115], v[106:107]
	v_add_f64 v[30:31], v[30:31], v[108:109]
	;; [unrolled: 1-line block ×10, first 2 shown]
	v_fma_f64 v[112:113], v[102:103], s[2:3], v[74:75]
	v_fma_f64 v[74:75], v[102:103], s[4:5], v[74:75]
	;; [unrolled: 1-line block ×3, first 2 shown]
	v_fma_f64 v[76:77], v[104:105], s[0:1], -v[76:77]
	v_fma_f64 v[118:119], v[102:103], s[34:35], v[118:119]
	v_fma_f64 v[120:121], v[104:105], s[28:29], -v[120:121]
	v_add_f64 v[4:5], v[6:7], v[4:5]
	v_add_f64 v[6:7], v[38:39], v[20:21]
	;; [unrolled: 1-line block ×10, first 2 shown]
	v_fma_f64 v[38:39], v[102:103], s[24:25], v[138:139]
	v_fma_f64 v[40:41], v[104:105], s[22:23], v[140:141]
	;; [unrolled: 1-line block ×3, first 2 shown]
	v_fma_f64 v[46:47], v[104:105], s[22:23], -v[140:141]
	v_add_f64 v[52:53], v[70:71], v[52:53]
	v_add_f64 v[70:71], v[14:15], v[16:17]
	v_fma_f64 v[50:51], v[102:103], s[18:19], v[142:143]
	v_fma_f64 v[59:60], v[102:103], s[20:21], v[142:143]
	;; [unrolled: 1-line block ×5, first 2 shown]
	v_fma_f64 v[114:115], v[104:105], s[16:17], -v[174:175]
	v_fma_f64 v[122:123], v[104:105], s[8:9], v[176:177]
	v_fma_f64 v[124:125], v[104:105], s[8:9], -v[176:177]
	v_add_f64 v[36:37], v[36:37], v[100:101]
	v_add_f64 v[30:31], v[116:117], v[30:31]
	;; [unrolled: 1-line block ×10, first 2 shown]
	v_add_co_u32 v134, vcc_lo, v23, v2
	v_add_co_ci_u32_e32 v135, vcc_lo, v22, v3, vcc_lo
	v_add_f64 v[8:9], v[8:9], v[4:5]
	v_add_f64 v[72:73], v[72:73], v[6:7]
	;; [unrolled: 1-line block ×10, first 2 shown]
	v_add_co_u32 v56, vcc_lo, v23, v57
	v_add_co_ci_u32_e32 v57, vcc_lo, v22, v58, vcc_lo
	v_add_f64 v[34:35], v[74:75], v[52:53]
	v_add_f64 v[12:13], v[12:13], v[70:71]
	v_add_co_u32 v61, vcc_lo, v23, v61
	v_add_co_ci_u32_e32 v62, vcc_lo, v22, v62, vcc_lo
	v_add_co_u32 v78, vcc_lo, v23, v78
	v_add_co_ci_u32_e32 v79, vcc_lo, v22, v79, vcc_lo
	v_add_f64 v[6:7], v[118:119], v[36:37]
	v_add_f64 v[4:5], v[120:121], v[30:31]
	;; [unrolled: 1-line block ×20, first 2 shown]
	v_add_co_u32 v8, vcc_lo, v23, v80
	v_add_co_ci_u32_e32 v9, vcc_lo, v22, v81, vcc_lo
	v_add_co_u32 v48, vcc_lo, v23, v82
	v_add_co_ci_u32_e32 v49, vcc_lo, v22, v83, vcc_lo
	;; [unrolled: 2-line block ×7, first 2 shown]
	s_clause 0xa
	global_store_b128 v[134:135], v[10:13], off
	global_store_b128 v[56:57], v[32:35], off
	;; [unrolled: 1-line block ×11, first 2 shown]
.LBB0_18:
	s_nop 0
	s_sendmsg sendmsg(MSG_DEALLOC_VGPRS)
	s_endpgm
	.section	.rodata,"a",@progbits
	.p2align	6, 0x0
	.amdhsa_kernel fft_rtc_fwd_len77_factors_7_11_wgs_253_tpt_11_halfLds_dp_op_CI_CI_sbrr_dirReg
		.amdhsa_group_segment_fixed_size 0
		.amdhsa_private_segment_fixed_size 0
		.amdhsa_kernarg_size 104
		.amdhsa_user_sgpr_count 15
		.amdhsa_user_sgpr_dispatch_ptr 0
		.amdhsa_user_sgpr_queue_ptr 0
		.amdhsa_user_sgpr_kernarg_segment_ptr 1
		.amdhsa_user_sgpr_dispatch_id 0
		.amdhsa_user_sgpr_private_segment_size 0
		.amdhsa_wavefront_size32 1
		.amdhsa_uses_dynamic_stack 0
		.amdhsa_enable_private_segment 0
		.amdhsa_system_sgpr_workgroup_id_x 1
		.amdhsa_system_sgpr_workgroup_id_y 0
		.amdhsa_system_sgpr_workgroup_id_z 0
		.amdhsa_system_sgpr_workgroup_info 0
		.amdhsa_system_vgpr_workitem_id 0
		.amdhsa_next_free_vgpr 224
		.amdhsa_next_free_sgpr 38
		.amdhsa_reserve_vcc 1
		.amdhsa_float_round_mode_32 0
		.amdhsa_float_round_mode_16_64 0
		.amdhsa_float_denorm_mode_32 3
		.amdhsa_float_denorm_mode_16_64 3
		.amdhsa_dx10_clamp 1
		.amdhsa_ieee_mode 1
		.amdhsa_fp16_overflow 0
		.amdhsa_workgroup_processor_mode 1
		.amdhsa_memory_ordered 1
		.amdhsa_forward_progress 0
		.amdhsa_shared_vgpr_count 0
		.amdhsa_exception_fp_ieee_invalid_op 0
		.amdhsa_exception_fp_denorm_src 0
		.amdhsa_exception_fp_ieee_div_zero 0
		.amdhsa_exception_fp_ieee_overflow 0
		.amdhsa_exception_fp_ieee_underflow 0
		.amdhsa_exception_fp_ieee_inexact 0
		.amdhsa_exception_int_div_zero 0
	.end_amdhsa_kernel
	.text
.Lfunc_end0:
	.size	fft_rtc_fwd_len77_factors_7_11_wgs_253_tpt_11_halfLds_dp_op_CI_CI_sbrr_dirReg, .Lfunc_end0-fft_rtc_fwd_len77_factors_7_11_wgs_253_tpt_11_halfLds_dp_op_CI_CI_sbrr_dirReg
                                        ; -- End function
	.section	.AMDGPU.csdata,"",@progbits
; Kernel info:
; codeLenInByte = 7000
; NumSgprs: 40
; NumVgprs: 224
; ScratchSize: 0
; MemoryBound: 1
; FloatMode: 240
; IeeeMode: 1
; LDSByteSize: 0 bytes/workgroup (compile time only)
; SGPRBlocks: 4
; VGPRBlocks: 27
; NumSGPRsForWavesPerEU: 40
; NumVGPRsForWavesPerEU: 224
; Occupancy: 6
; WaveLimiterHint : 1
; COMPUTE_PGM_RSRC2:SCRATCH_EN: 0
; COMPUTE_PGM_RSRC2:USER_SGPR: 15
; COMPUTE_PGM_RSRC2:TRAP_HANDLER: 0
; COMPUTE_PGM_RSRC2:TGID_X_EN: 1
; COMPUTE_PGM_RSRC2:TGID_Y_EN: 0
; COMPUTE_PGM_RSRC2:TGID_Z_EN: 0
; COMPUTE_PGM_RSRC2:TIDIG_COMP_CNT: 0
	.text
	.p2alignl 7, 3214868480
	.fill 96, 4, 3214868480
	.type	__hip_cuid_ef971f32125ec06f,@object ; @__hip_cuid_ef971f32125ec06f
	.section	.bss,"aw",@nobits
	.globl	__hip_cuid_ef971f32125ec06f
__hip_cuid_ef971f32125ec06f:
	.byte	0                               ; 0x0
	.size	__hip_cuid_ef971f32125ec06f, 1

	.ident	"AMD clang version 19.0.0git (https://github.com/RadeonOpenCompute/llvm-project roc-6.4.0 25133 c7fe45cf4b819c5991fe208aaa96edf142730f1d)"
	.section	".note.GNU-stack","",@progbits
	.addrsig
	.addrsig_sym __hip_cuid_ef971f32125ec06f
	.amdgpu_metadata
---
amdhsa.kernels:
  - .args:
      - .actual_access:  read_only
        .address_space:  global
        .offset:         0
        .size:           8
        .value_kind:     global_buffer
      - .offset:         8
        .size:           8
        .value_kind:     by_value
      - .actual_access:  read_only
        .address_space:  global
        .offset:         16
        .size:           8
        .value_kind:     global_buffer
      - .actual_access:  read_only
        .address_space:  global
        .offset:         24
        .size:           8
        .value_kind:     global_buffer
      - .actual_access:  read_only
        .address_space:  global
        .offset:         32
        .size:           8
        .value_kind:     global_buffer
      - .offset:         40
        .size:           8
        .value_kind:     by_value
      - .actual_access:  read_only
        .address_space:  global
        .offset:         48
        .size:           8
        .value_kind:     global_buffer
      - .actual_access:  read_only
        .address_space:  global
        .offset:         56
        .size:           8
        .value_kind:     global_buffer
      - .offset:         64
        .size:           4
        .value_kind:     by_value
      - .actual_access:  read_only
        .address_space:  global
        .offset:         72
        .size:           8
        .value_kind:     global_buffer
      - .actual_access:  read_only
        .address_space:  global
        .offset:         80
        .size:           8
        .value_kind:     global_buffer
      - .actual_access:  read_only
        .address_space:  global
        .offset:         88
        .size:           8
        .value_kind:     global_buffer
      - .actual_access:  write_only
        .address_space:  global
        .offset:         96
        .size:           8
        .value_kind:     global_buffer
    .group_segment_fixed_size: 0
    .kernarg_segment_align: 8
    .kernarg_segment_size: 104
    .language:       OpenCL C
    .language_version:
      - 2
      - 0
    .max_flat_workgroup_size: 253
    .name:           fft_rtc_fwd_len77_factors_7_11_wgs_253_tpt_11_halfLds_dp_op_CI_CI_sbrr_dirReg
    .private_segment_fixed_size: 0
    .sgpr_count:     40
    .sgpr_spill_count: 0
    .symbol:         fft_rtc_fwd_len77_factors_7_11_wgs_253_tpt_11_halfLds_dp_op_CI_CI_sbrr_dirReg.kd
    .uniform_work_group_size: 1
    .uses_dynamic_stack: false
    .vgpr_count:     224
    .vgpr_spill_count: 0
    .wavefront_size: 32
    .workgroup_processor_mode: 1
amdhsa.target:   amdgcn-amd-amdhsa--gfx1100
amdhsa.version:
  - 1
  - 2
...

	.end_amdgpu_metadata
